;; amdgpu-corpus repo=ROCm/rocFFT kind=compiled arch=gfx906 opt=O3
	.text
	.amdgcn_target "amdgcn-amd-amdhsa--gfx906"
	.amdhsa_code_object_version 6
	.protected	fft_rtc_fwd_len26_factors_13_2_wgs_64_tpt_2_halfLds_half_ip_CI_unitstride_sbrr_C2R_dirReg ; -- Begin function fft_rtc_fwd_len26_factors_13_2_wgs_64_tpt_2_halfLds_half_ip_CI_unitstride_sbrr_C2R_dirReg
	.globl	fft_rtc_fwd_len26_factors_13_2_wgs_64_tpt_2_halfLds_half_ip_CI_unitstride_sbrr_C2R_dirReg
	.p2align	8
	.type	fft_rtc_fwd_len26_factors_13_2_wgs_64_tpt_2_halfLds_half_ip_CI_unitstride_sbrr_C2R_dirReg,@function
fft_rtc_fwd_len26_factors_13_2_wgs_64_tpt_2_halfLds_half_ip_CI_unitstride_sbrr_C2R_dirReg: ; @fft_rtc_fwd_len26_factors_13_2_wgs_64_tpt_2_halfLds_half_ip_CI_unitstride_sbrr_C2R_dirReg
; %bb.0:
	s_load_dwordx2 s[12:13], s[4:5], 0x50
	s_load_dwordx4 s[8:11], s[4:5], 0x0
	s_load_dwordx2 s[2:3], s[4:5], 0x18
	v_lshrrev_b32_e32 v9, 1, v0
	v_mov_b32_e32 v3, 0
	v_mov_b32_e32 v1, 0
	s_waitcnt lgkmcnt(0)
	v_cmp_lt_u64_e64 s[0:1], s[10:11], 2
	v_lshl_or_b32 v5, s6, 5, v9
	v_mov_b32_e32 v6, v3
	s_and_b64 vcc, exec, s[0:1]
	v_mov_b32_e32 v2, 0
	s_cbranch_vccnz .LBB0_8
; %bb.1:
	s_load_dwordx2 s[0:1], s[4:5], 0x10
	s_add_u32 s6, s2, 8
	s_addc_u32 s7, s3, 0
	v_mov_b32_e32 v1, 0
	v_mov_b32_e32 v2, 0
	s_waitcnt lgkmcnt(0)
	s_add_u32 s14, s0, 8
	s_addc_u32 s15, s1, 0
	s_mov_b64 s[16:17], 1
.LBB0_2:                                ; =>This Inner Loop Header: Depth=1
	s_load_dwordx2 s[18:19], s[14:15], 0x0
                                        ; implicit-def: $vgpr7_vgpr8
	s_waitcnt lgkmcnt(0)
	v_or_b32_e32 v4, s19, v6
	v_cmp_ne_u64_e32 vcc, 0, v[3:4]
	s_and_saveexec_b64 s[0:1], vcc
	s_xor_b64 s[20:21], exec, s[0:1]
	s_cbranch_execz .LBB0_4
; %bb.3:                                ;   in Loop: Header=BB0_2 Depth=1
	v_cvt_f32_u32_e32 v4, s18
	v_cvt_f32_u32_e32 v7, s19
	s_sub_u32 s0, 0, s18
	s_subb_u32 s1, 0, s19
	v_mac_f32_e32 v4, 0x4f800000, v7
	v_rcp_f32_e32 v4, v4
	v_mul_f32_e32 v4, 0x5f7ffffc, v4
	v_mul_f32_e32 v7, 0x2f800000, v4
	v_trunc_f32_e32 v7, v7
	v_mac_f32_e32 v4, 0xcf800000, v7
	v_cvt_u32_f32_e32 v7, v7
	v_cvt_u32_f32_e32 v4, v4
	v_mul_lo_u32 v8, s0, v7
	v_mul_hi_u32 v10, s0, v4
	v_mul_lo_u32 v12, s1, v4
	v_mul_lo_u32 v11, s0, v4
	v_add_u32_e32 v8, v10, v8
	v_add_u32_e32 v8, v8, v12
	v_mul_hi_u32 v10, v4, v11
	v_mul_lo_u32 v12, v4, v8
	v_mul_hi_u32 v14, v4, v8
	v_mul_hi_u32 v13, v7, v11
	v_mul_lo_u32 v11, v7, v11
	v_mul_hi_u32 v15, v7, v8
	v_add_co_u32_e32 v10, vcc, v10, v12
	v_addc_co_u32_e32 v12, vcc, 0, v14, vcc
	v_mul_lo_u32 v8, v7, v8
	v_add_co_u32_e32 v10, vcc, v10, v11
	v_addc_co_u32_e32 v10, vcc, v12, v13, vcc
	v_addc_co_u32_e32 v11, vcc, 0, v15, vcc
	v_add_co_u32_e32 v8, vcc, v10, v8
	v_addc_co_u32_e32 v10, vcc, 0, v11, vcc
	v_add_co_u32_e32 v4, vcc, v4, v8
	v_addc_co_u32_e32 v7, vcc, v7, v10, vcc
	v_mul_lo_u32 v8, s0, v7
	v_mul_hi_u32 v10, s0, v4
	v_mul_lo_u32 v11, s1, v4
	v_mul_lo_u32 v12, s0, v4
	v_add_u32_e32 v8, v10, v8
	v_add_u32_e32 v8, v8, v11
	v_mul_lo_u32 v13, v4, v8
	v_mul_hi_u32 v14, v4, v12
	v_mul_hi_u32 v15, v4, v8
	;; [unrolled: 1-line block ×3, first 2 shown]
	v_mul_lo_u32 v12, v7, v12
	v_mul_hi_u32 v10, v7, v8
	v_add_co_u32_e32 v13, vcc, v14, v13
	v_addc_co_u32_e32 v14, vcc, 0, v15, vcc
	v_mul_lo_u32 v8, v7, v8
	v_add_co_u32_e32 v12, vcc, v13, v12
	v_addc_co_u32_e32 v11, vcc, v14, v11, vcc
	v_addc_co_u32_e32 v10, vcc, 0, v10, vcc
	v_add_co_u32_e32 v8, vcc, v11, v8
	v_addc_co_u32_e32 v10, vcc, 0, v10, vcc
	v_add_co_u32_e32 v4, vcc, v4, v8
	v_addc_co_u32_e32 v10, vcc, v7, v10, vcc
	v_mad_u64_u32 v[7:8], s[0:1], v5, v10, 0
	v_mul_hi_u32 v11, v5, v4
	v_add_co_u32_e32 v12, vcc, v11, v7
	v_addc_co_u32_e32 v13, vcc, 0, v8, vcc
	v_mad_u64_u32 v[7:8], s[0:1], v6, v4, 0
	v_mad_u64_u32 v[10:11], s[0:1], v6, v10, 0
	v_add_co_u32_e32 v4, vcc, v12, v7
	v_addc_co_u32_e32 v4, vcc, v13, v8, vcc
	v_addc_co_u32_e32 v7, vcc, 0, v11, vcc
	v_add_co_u32_e32 v4, vcc, v4, v10
	v_addc_co_u32_e32 v10, vcc, 0, v7, vcc
	v_mul_lo_u32 v11, s19, v4
	v_mul_lo_u32 v12, s18, v10
	v_mad_u64_u32 v[7:8], s[0:1], s18, v4, 0
	v_add3_u32 v8, v8, v12, v11
	v_sub_u32_e32 v11, v6, v8
	v_mov_b32_e32 v12, s19
	v_sub_co_u32_e32 v7, vcc, v5, v7
	v_subb_co_u32_e64 v11, s[0:1], v11, v12, vcc
	v_subrev_co_u32_e64 v12, s[0:1], s18, v7
	v_subbrev_co_u32_e64 v11, s[0:1], 0, v11, s[0:1]
	v_cmp_le_u32_e64 s[0:1], s19, v11
	v_cndmask_b32_e64 v13, 0, -1, s[0:1]
	v_cmp_le_u32_e64 s[0:1], s18, v12
	v_cndmask_b32_e64 v12, 0, -1, s[0:1]
	v_cmp_eq_u32_e64 s[0:1], s19, v11
	v_cndmask_b32_e64 v11, v13, v12, s[0:1]
	v_add_co_u32_e64 v12, s[0:1], 2, v4
	v_addc_co_u32_e64 v13, s[0:1], 0, v10, s[0:1]
	v_add_co_u32_e64 v14, s[0:1], 1, v4
	v_addc_co_u32_e64 v15, s[0:1], 0, v10, s[0:1]
	v_subb_co_u32_e32 v8, vcc, v6, v8, vcc
	v_cmp_ne_u32_e64 s[0:1], 0, v11
	v_cmp_le_u32_e32 vcc, s19, v8
	v_cndmask_b32_e64 v11, v15, v13, s[0:1]
	v_cndmask_b32_e64 v13, 0, -1, vcc
	v_cmp_le_u32_e32 vcc, s18, v7
	v_cndmask_b32_e64 v7, 0, -1, vcc
	v_cmp_eq_u32_e32 vcc, s19, v8
	v_cndmask_b32_e32 v7, v13, v7, vcc
	v_cmp_ne_u32_e32 vcc, 0, v7
	v_cndmask_b32_e64 v7, v14, v12, s[0:1]
	v_cndmask_b32_e32 v8, v10, v11, vcc
	v_cndmask_b32_e32 v7, v4, v7, vcc
.LBB0_4:                                ;   in Loop: Header=BB0_2 Depth=1
	s_andn2_saveexec_b64 s[0:1], s[20:21]
	s_cbranch_execz .LBB0_6
; %bb.5:                                ;   in Loop: Header=BB0_2 Depth=1
	v_cvt_f32_u32_e32 v4, s18
	s_sub_i32 s20, 0, s18
	v_rcp_iflag_f32_e32 v4, v4
	v_mul_f32_e32 v4, 0x4f7ffffe, v4
	v_cvt_u32_f32_e32 v4, v4
	v_mul_lo_u32 v7, s20, v4
	v_mul_hi_u32 v7, v4, v7
	v_add_u32_e32 v4, v4, v7
	v_mul_hi_u32 v4, v5, v4
	v_mul_lo_u32 v7, v4, s18
	v_add_u32_e32 v8, 1, v4
	v_sub_u32_e32 v7, v5, v7
	v_subrev_u32_e32 v10, s18, v7
	v_cmp_le_u32_e32 vcc, s18, v7
	v_cndmask_b32_e32 v7, v7, v10, vcc
	v_cndmask_b32_e32 v4, v4, v8, vcc
	v_add_u32_e32 v8, 1, v4
	v_cmp_le_u32_e32 vcc, s18, v7
	v_cndmask_b32_e32 v7, v4, v8, vcc
	v_mov_b32_e32 v8, v3
.LBB0_6:                                ;   in Loop: Header=BB0_2 Depth=1
	s_or_b64 exec, exec, s[0:1]
	v_mul_lo_u32 v4, v8, s18
	v_mul_lo_u32 v12, v7, s19
	v_mad_u64_u32 v[10:11], s[0:1], v7, s18, 0
	s_load_dwordx2 s[0:1], s[6:7], 0x0
	s_add_u32 s16, s16, 1
	v_add3_u32 v4, v11, v12, v4
	v_sub_co_u32_e32 v5, vcc, v5, v10
	v_subb_co_u32_e32 v4, vcc, v6, v4, vcc
	s_waitcnt lgkmcnt(0)
	v_mul_lo_u32 v4, s0, v4
	v_mul_lo_u32 v6, s1, v5
	v_mad_u64_u32 v[1:2], s[0:1], s0, v5, v[1:2]
	s_addc_u32 s17, s17, 0
	s_add_u32 s6, s6, 8
	v_add3_u32 v2, v6, v2, v4
	v_mov_b32_e32 v4, s10
	v_mov_b32_e32 v5, s11
	s_addc_u32 s7, s7, 0
	v_cmp_ge_u64_e32 vcc, s[16:17], v[4:5]
	s_add_u32 s14, s14, 8
	s_addc_u32 s15, s15, 0
	s_cbranch_vccnz .LBB0_9
; %bb.7:                                ;   in Loop: Header=BB0_2 Depth=1
	v_mov_b32_e32 v5, v7
	v_mov_b32_e32 v6, v8
	s_branch .LBB0_2
.LBB0_8:
	v_mov_b32_e32 v8, v6
	v_mov_b32_e32 v7, v5
.LBB0_9:
	s_lshl_b64 s[0:1], s[10:11], 3
	s_add_u32 s0, s2, s0
	s_addc_u32 s1, s3, s1
	s_load_dwordx2 s[2:3], s[0:1], 0x0
	s_load_dwordx2 s[6:7], s[4:5], 0x20
	v_and_b32_e32 v4, 1, v0
	v_mul_u32_u24_e32 v9, 27, v9
	v_mov_b32_e32 v0, 0
	s_waitcnt lgkmcnt(0)
	v_mul_lo_u32 v3, s2, v8
	v_mul_lo_u32 v5, s3, v7
	v_mad_u64_u32 v[1:2], s[0:1], s2, v7, v[1:2]
	v_cmp_gt_u64_e32 vcc, s[6:7], v[7:8]
	v_add3_u32 v2, v5, v2, v3
	v_lshlrev_b64 v[2:3], 2, v[1:2]
	v_mov_b32_e32 v5, v4
	s_and_saveexec_b64 s[2:3], vcc
	s_cbranch_execz .LBB0_13
; %bb.10:
	v_mov_b32_e32 v1, s13
	v_add_co_u32_e64 v5, s[0:1], s12, v2
	v_addc_co_u32_e64 v1, s[0:1], v1, v3, s[0:1]
	v_lshlrev_b32_e32 v10, 2, v4
	v_add_co_u32_e64 v5, s[0:1], v5, v10
	v_addc_co_u32_e64 v6, s[0:1], 0, v1, s[0:1]
	global_load_dword v11, v[5:6], off
	global_load_dword v12, v[5:6], off offset:8
	global_load_dword v13, v[5:6], off offset:16
	;; [unrolled: 1-line block ×12, first 2 shown]
	v_lshlrev_b32_e32 v1, 2, v9
	v_mov_b32_e32 v7, 0
	v_mov_b32_e32 v8, 0
	v_add3_u32 v1, 0, v1, v10
	v_cmp_ne_u32_e64 s[0:1], 0, v4
	s_waitcnt vmcnt(11)
	ds_write2_b32 v1, v11, v12 offset1:2
	s_waitcnt vmcnt(9)
	ds_write2_b32 v1, v13, v14 offset0:4 offset1:6
	s_waitcnt vmcnt(7)
	ds_write2_b32 v1, v15, v16 offset0:8 offset1:10
	s_waitcnt vmcnt(5)
	ds_write2_b32 v1, v17, v18 offset0:12 offset1:14
	s_waitcnt vmcnt(3)
	ds_write2_b32 v1, v19, v20 offset0:16 offset1:18
	s_waitcnt vmcnt(1)
	ds_write2_b32 v1, v21, v22 offset0:20 offset1:22
	s_waitcnt vmcnt(0)
	ds_write_b32 v1, v23 offset:96
	s_and_saveexec_b64 s[4:5], s[0:1]
	s_cbranch_execz .LBB0_12
; %bb.11:
	global_load_dword v5, v[5:6], off offset:100
	v_mov_b32_e32 v0, 1
	s_waitcnt vmcnt(0)
	v_mov_b32_e32 v8, v5
	v_mov_b32_e32 v7, v4
	ds_write_b32 v1, v5 offset:100
.LBB0_12:
	s_or_b64 exec, exec, s[4:5]
	v_mov_b32_e32 v4, v7
	v_mov_b32_e32 v5, v8
	;; [unrolled: 1-line block ×3, first 2 shown]
.LBB0_13:
	s_or_b64 exec, exec, s[2:3]
	v_lshl_add_u32 v18, v9, 2, 0
	v_lshlrev_b32_e32 v1, 2, v5
	v_add_u32_e32 v20, v18, v1
	s_waitcnt lgkmcnt(0)
	; wave barrier
	s_waitcnt lgkmcnt(0)
	v_sub_u32_e32 v6, v18, v1
	ds_read_u16 v10, v20
	ds_read_u16 v11, v6 offset:104
	v_cmp_eq_u32_e64 s[0:1], 0, v5
	v_cmp_ne_u32_e64 s[2:3], 0, v5
	v_lshlrev_b32_e32 v19, 2, v4
	s_waitcnt lgkmcnt(0)
	v_add_f16_e32 v7, v11, v10
	v_sub_f16_e32 v8, v10, v11
	s_and_saveexec_b64 s[4:5], s[2:3]
	s_xor_b64 s[2:3], exec, s[4:5]
	s_cbranch_execz .LBB0_15
; %bb.14:
	global_load_dword v4, v19, s[8:9] offset:52
	ds_read_u16 v7, v6 offset:106
	ds_read_u16 v8, v20 offset:2
	v_add_f16_e32 v12, v11, v10
	v_sub_f16_e32 v10, v10, v11
	s_waitcnt lgkmcnt(0)
	v_add_f16_e32 v11, v7, v8
	v_sub_f16_e32 v7, v8, v7
	s_waitcnt vmcnt(0)
	v_lshrrev_b32_e32 v8, 16, v4
	v_fma_f16 v13, v10, v8, v12
	v_fma_f16 v14, v11, v8, v7
	v_fma_f16 v12, -v10, v8, v12
	v_fma_f16 v15, v11, v8, -v7
	v_fma_f16 v7, -v4, v11, v13
	v_fma_f16 v8, v10, v4, v14
	v_fma_f16 v11, v4, v11, v12
	;; [unrolled: 1-line block ×3, first 2 shown]
	v_pack_b32_f16 v4, v11, v4
	ds_write_b32 v6, v4 offset:104
.LBB0_15:
	s_andn2_saveexec_b64 s[2:3], s[2:3]
	s_cbranch_execz .LBB0_17
; %bb.16:
	ds_read_b32 v4, v18 offset:52
	s_mov_b32 s4, 0xc0004000
	s_waitcnt lgkmcnt(0)
	v_pk_mul_f16 v4, v4, s4
	ds_write_b32 v18, v4 offset:52
.LBB0_17:
	s_or_b64 exec, exec, s[2:3]
	s_add_u32 s2, s8, 52
	s_addc_u32 s3, s9, 0
	global_load_dword v4, v1, s[2:3] offset:8
	global_load_dword v10, v1, s[2:3] offset:16
	;; [unrolled: 1-line block ×4, first 2 shown]
	s_mov_b32 s4, 0x5040100
	v_perm_b32 v7, v8, v7, s4
	ds_write_b32 v20, v7
	ds_read_b32 v7, v20 offset:8
	ds_read_b32 v8, v6 offset:96
	global_load_dword v13, v1, s[2:3] offset:40
	s_waitcnt lgkmcnt(0)
	v_add_f16_e32 v14, v7, v8
	v_add_f16_sdwa v15, v8, v7 dst_sel:DWORD dst_unused:UNUSED_PAD src0_sel:WORD_1 src1_sel:WORD_1
	v_sub_f16_e32 v16, v7, v8
	v_sub_f16_sdwa v7, v7, v8 dst_sel:DWORD dst_unused:UNUSED_PAD src0_sel:WORD_1 src1_sel:WORD_1
	s_waitcnt vmcnt(4)
	v_lshrrev_b32_e32 v8, 16, v4
	v_fma_f16 v17, v16, v8, v14
	v_fma_f16 v21, v15, v8, v7
	v_fma_f16 v14, -v16, v8, v14
	v_fma_f16 v7, v15, v8, -v7
	v_fma_f16 v8, -v4, v15, v17
	v_fma_f16 v17, v16, v4, v21
	v_fma_f16 v14, v4, v15, v14
	v_fma_f16 v4, v16, v4, v7
	v_pack_b32_f16 v7, v8, v17
	v_pack_b32_f16 v4, v14, v4
	ds_write_b32 v20, v7 offset:8
	ds_write_b32 v6, v4 offset:96
	ds_read_b32 v4, v20 offset:16
	ds_read_b32 v7, v6 offset:88
	s_waitcnt vmcnt(3)
	v_lshrrev_b32_e32 v8, 16, v10
	s_waitcnt lgkmcnt(0)
	v_add_f16_e32 v14, v4, v7
	v_add_f16_sdwa v15, v7, v4 dst_sel:DWORD dst_unused:UNUSED_PAD src0_sel:WORD_1 src1_sel:WORD_1
	v_sub_f16_e32 v16, v4, v7
	v_sub_f16_sdwa v4, v4, v7 dst_sel:DWORD dst_unused:UNUSED_PAD src0_sel:WORD_1 src1_sel:WORD_1
	v_fma_f16 v7, v16, v8, v14
	v_fma_f16 v17, v15, v8, v4
	v_fma_f16 v14, -v16, v8, v14
	v_fma_f16 v4, v15, v8, -v4
	v_fma_f16 v7, -v10, v15, v7
	v_fma_f16 v8, v16, v10, v17
	v_fma_f16 v14, v10, v15, v14
	v_fma_f16 v4, v16, v10, v4
	v_pack_b32_f16 v7, v7, v8
	v_pack_b32_f16 v4, v14, v4
	ds_write_b32 v20, v7 offset:16
	ds_write_b32 v6, v4 offset:88
	ds_read_b32 v4, v20 offset:24
	ds_read_b32 v7, v6 offset:80
	s_waitcnt vmcnt(2)
	v_lshrrev_b32_e32 v8, 16, v11
	s_waitcnt lgkmcnt(0)
	v_add_f16_e32 v10, v4, v7
	v_add_f16_sdwa v14, v7, v4 dst_sel:DWORD dst_unused:UNUSED_PAD src0_sel:WORD_1 src1_sel:WORD_1
	v_sub_f16_e32 v15, v4, v7
	v_sub_f16_sdwa v4, v4, v7 dst_sel:DWORD dst_unused:UNUSED_PAD src0_sel:WORD_1 src1_sel:WORD_1
	;; [unrolled: 21-line block ×3, first 2 shown]
	v_fma_f16 v7, v14, v8, v10
	v_fma_f16 v15, v11, v8, v4
	v_fma_f16 v10, -v14, v8, v10
	v_fma_f16 v4, v11, v8, -v4
	v_fma_f16 v7, -v12, v11, v7
	v_fma_f16 v8, v14, v12, v15
	v_fma_f16 v10, v12, v11, v10
	v_fma_f16 v4, v14, v12, v4
	v_pack_b32_f16 v7, v7, v8
	v_pack_b32_f16 v4, v10, v4
	ds_write_b32 v20, v7 offset:32
	ds_write_b32 v6, v4 offset:72
	ds_read_b32 v7, v20 offset:40
	ds_read_b32 v8, v6 offset:64
	s_waitcnt vmcnt(0)
	v_lshrrev_b32_e32 v10, 16, v13
	v_mov_b32_e32 v4, 0
	s_waitcnt lgkmcnt(0)
	v_add_f16_e32 v11, v7, v8
	v_add_f16_sdwa v12, v8, v7 dst_sel:DWORD dst_unused:UNUSED_PAD src0_sel:WORD_1 src1_sel:WORD_1
	v_sub_f16_e32 v14, v7, v8
	v_sub_f16_sdwa v7, v7, v8 dst_sel:DWORD dst_unused:UNUSED_PAD src0_sel:WORD_1 src1_sel:WORD_1
	v_fma_f16 v8, v14, v10, v11
	v_fma_f16 v15, v12, v10, v7
	v_fma_f16 v11, -v14, v10, v11
	v_fma_f16 v7, v12, v10, -v7
	v_fma_f16 v8, -v13, v12, v8
	v_fma_f16 v10, v14, v13, v15
	v_fma_f16 v11, v13, v12, v11
	;; [unrolled: 1-line block ×3, first 2 shown]
	v_pack_b32_f16 v8, v8, v10
	v_pack_b32_f16 v7, v11, v7
	ds_write_b32 v20, v8 offset:40
	ds_write_b32 v6, v7 offset:64
	s_and_saveexec_b64 s[2:3], s[0:1]
	s_cbranch_execz .LBB0_19
; %bb.18:
	global_load_dword v4, v4, s[8:9] offset:100
	ds_read2_b32 v[6:7], v18 offset0:12 offset1:14
	s_waitcnt lgkmcnt(0)
	v_add_f16_e32 v8, v6, v7
	v_add_f16_sdwa v10, v7, v6 dst_sel:DWORD dst_unused:UNUSED_PAD src0_sel:WORD_1 src1_sel:WORD_1
	v_sub_f16_e32 v11, v6, v7
	v_sub_f16_sdwa v6, v6, v7 dst_sel:DWORD dst_unused:UNUSED_PAD src0_sel:WORD_1 src1_sel:WORD_1
	s_waitcnt vmcnt(0)
	v_lshrrev_b32_e32 v7, 16, v4
	v_fma_f16 v12, v11, v7, v8
	v_fma_f16 v13, v10, v7, v6
	v_fma_f16 v8, -v11, v7, v8
	v_fma_f16 v6, v10, v7, -v6
	v_fma_f16 v7, -v4, v10, v12
	v_fma_f16 v12, v11, v4, v13
	v_fma_f16 v8, v4, v10, v8
	;; [unrolled: 1-line block ×3, first 2 shown]
	v_pack_b32_f16 v6, v7, v12
	v_pack_b32_f16 v4, v8, v4
	ds_write2_b32 v18, v6, v4 offset0:12 offset1:14
.LBB0_19:
	s_or_b64 exec, exec, s[2:3]
	v_lshl_add_u32 v4, v5, 2, 0
	v_lshl_add_u32 v21, v9, 2, v4
	s_waitcnt lgkmcnt(0)
	; wave barrier
	s_waitcnt lgkmcnt(0)
	s_waitcnt lgkmcnt(0)
	; wave barrier
	s_waitcnt lgkmcnt(0)
	v_mad_u32_u24 v8, v5, 48, v21
	ds_read2_b32 v[14:15], v21 offset0:2 offset1:4
	ds_read2_b32 v[22:23], v21 offset0:6 offset1:8
	ds_read_b32 v9, v20
	ds_read2_b32 v[4:5], v21 offset0:10 offset1:12
	ds_read2_b32 v[6:7], v21 offset0:14 offset1:16
	;; [unrolled: 1-line block ×4, first 2 shown]
	s_waitcnt lgkmcnt(4)
	v_pk_add_f16 v10, v9, v14
	v_pk_add_f16 v10, v10, v15
	;; [unrolled: 1-line block ×4, first 2 shown]
	s_waitcnt lgkmcnt(3)
	v_pk_add_f16 v10, v10, v4
	v_pk_add_f16 v10, v10, v5
	s_waitcnt lgkmcnt(2)
	v_pk_add_f16 v10, v10, v6
	v_pk_add_f16 v10, v10, v7
	;; [unrolled: 3-line block ×4, first 2 shown]
	v_pk_add_f16 v10, v14, v17 neg_lo:[0,1] neg_hi:[0,1]
	s_mov_b32 s2, 0xb770
	v_pk_add_f16 v12, v17, v14
	v_mul_f16_sdwa v13, v10, s2 dst_sel:DWORD dst_unused:UNUSED_PAD src0_sel:WORD_1 src1_sel:DWORD
	s_movk_i32 s2, 0x3b15
	v_fma_f16 v14, v12, s2, -v13
	v_fma_f16 v13, v12, s2, v13
	s_mov_b32 s3, 0x3b15388b
	v_add_f16_e32 v24, v9, v13
	v_pk_mul_f16 v13, v12, s3
	s_mov_b32 s3, 0xba95b770
	v_pk_fma_f16 v26, v10, s3, v13 op_sel:[0,0,1] op_sel_hi:[1,1,0] neg_lo:[1,0,0] neg_hi:[1,0,0]
	v_pk_fma_f16 v13, v10, s3, v13 op_sel:[0,0,1] op_sel_hi:[1,1,0]
	s_mov_b32 s4, 0xffff
	v_add_f16_e32 v17, v9, v14
	v_bfi_b32 v14, s4, v13, v26
	v_pk_add_f16 v25, v9, v14 op_sel:[1,0] op_sel_hi:[0,1]
	v_lshrrev_b32_e32 v14, 16, v12
	v_mul_f16_e32 v29, 0xba95, v10
	s_movk_i32 s3, 0x388b
	v_pk_add_f16 v31, v9, v13 op_sel:[1,0] op_sel_hi:[0,1]
	v_fma_f16 v13, v14, s3, -v29
	s_mov_b32 s19, 0xbbf1
	v_add_f16_sdwa v32, v9, v13 dst_sel:DWORD dst_unused:UNUSED_PAD src0_sel:WORD_1 src1_sel:DWORD
	v_mul_f16_sdwa v13, v10, s19 dst_sel:DWORD dst_unused:UNUSED_PAD src0_sel:WORD_1 src1_sel:DWORD
	s_movk_i32 s5, 0x2fb7
	v_fma_f16 v30, v14, s3, v29
	v_fma_f16 v29, v12, s5, -v13
	v_add_f16_e32 v33, v9, v29
	v_mul_f16_e32 v29, 0xbbf1, v10
	v_fma_f16 v13, v12, s5, v13
	v_add_f16_e32 v35, v9, v13
	v_fma_f16 v13, v14, s5, -v29
	s_mov_b32 s6, 0xbb7b
	v_add_f16_sdwa v36, v9, v13 dst_sel:DWORD dst_unused:UNUSED_PAD src0_sel:WORD_1 src1_sel:DWORD
	v_mul_f16_sdwa v13, v10, s6 dst_sel:DWORD dst_unused:UNUSED_PAD src0_sel:WORD_1 src1_sel:DWORD
	s_mov_b32 s7, 0xb5ac
	v_fma_f16 v34, v14, s5, v29
	v_fma_f16 v29, v12, s7, -v13
	v_add_f16_e32 v37, v9, v29
	v_mul_f16_e32 v29, 0xbb7b, v10
	v_fma_f16 v13, v12, s7, v13
	v_add_f16_e32 v39, v9, v13
	v_fma_f16 v13, v14, s7, -v29
	s_mov_b32 s10, 0xb94e
	v_add_f16_sdwa v40, v9, v13 dst_sel:DWORD dst_unused:UNUSED_PAD src0_sel:WORD_1 src1_sel:DWORD
	v_mul_f16_sdwa v13, v10, s10 dst_sel:DWORD dst_unused:UNUSED_PAD src0_sel:WORD_1 src1_sel:DWORD
	s_mov_b32 s11, 0xb9fd
	v_fma_f16 v38, v14, s7, v29
	v_fma_f16 v29, v12, s11, -v13
	v_add_f16_e32 v41, v9, v29
	v_mul_f16_e32 v29, 0xb94e, v10
	v_fma_f16 v13, v12, s11, v13
	v_add_f16_e32 v43, v9, v13
	v_fma_f16 v13, v14, s11, -v29
	s_mov_b32 s18, 0xba95
	v_add_f16_sdwa v44, v9, v13 dst_sel:DWORD dst_unused:UNUSED_PAD src0_sel:WORD_1 src1_sel:DWORD
	v_pk_add_f16 v13, v15, v16 neg_lo:[0,1] neg_hi:[0,1]
	v_fma_f16 v42, v14, s11, v29
	v_pk_add_f16 v14, v16, v15
	v_mul_f16_sdwa v15, v13, s18 dst_sel:DWORD dst_unused:UNUSED_PAD src0_sel:WORD_1 src1_sel:DWORD
	v_fma_f16 v16, v14, s3, -v15
	v_fma_f16 v15, v14, s3, v15
	s_mov_b32 s14, 0x388bb5ac
	v_add_f16_e32 v24, v15, v24
	v_pk_mul_f16 v15, v14, s14
	s_mov_b32 s14, 0xbb7bba95
	v_pk_fma_f16 v29, v13, s14, v15 op_sel:[0,0,1] op_sel_hi:[1,1,0] neg_lo:[1,0,0] neg_hi:[1,0,0]
	v_pk_fma_f16 v15, v13, s14, v15 op_sel:[0,0,1] op_sel_hi:[1,1,0]
	v_add_f16_e32 v17, v16, v17
	v_bfi_b32 v16, s4, v15, v29
	v_pk_add_f16 v25, v16, v25
	v_lshrrev_b32_e32 v16, 16, v14
	v_mul_f16_e32 v45, 0xbb7b, v13
	v_pk_add_f16 v31, v15, v31
	v_fma_f16 v15, v16, s7, -v45
	s_mov_b32 s14, 0xb3a8
	v_fma_f16 v46, v16, s7, v45
	v_add_f16_e32 v45, v15, v32
	v_mul_f16_sdwa v15, v13, s14 dst_sel:DWORD dst_unused:UNUSED_PAD src0_sel:WORD_1 src1_sel:DWORD
	s_mov_b32 s16, 0xbbc4
	v_fma_f16 v32, v14, s16, -v15
	v_add_f16_e32 v33, v32, v33
	v_mul_f16_e32 v32, 0xb3a8, v13
	v_fma_f16 v15, v14, s16, v15
	v_add_f16_e32 v35, v15, v35
	v_fma_f16 v15, v16, s16, -v32
	s_movk_i32 s15, 0x394e
	v_add_f16_sdwa v30, v9, v30 dst_sel:DWORD dst_unused:UNUSED_PAD src0_sel:WORD_1 src1_sel:DWORD
	v_add_f16_e32 v36, v15, v36
	v_mul_f16_sdwa v15, v13, s15 dst_sel:DWORD dst_unused:UNUSED_PAD src0_sel:WORD_1 src1_sel:DWORD
	v_add_f16_e32 v30, v46, v30
	v_fma_f16 v46, v16, s16, v32
	v_fma_f16 v32, v14, s11, -v15
	v_add_f16_e32 v37, v32, v37
	v_mul_f16_e32 v32, 0x394e, v13
	v_fma_f16 v15, v14, s11, v15
	v_add_f16_e32 v39, v15, v39
	v_fma_f16 v15, v16, s11, -v32
	s_movk_i32 s15, 0x3bf1
	v_add_f16_sdwa v34, v9, v34 dst_sel:DWORD dst_unused:UNUSED_PAD src0_sel:WORD_1 src1_sel:DWORD
	v_add_f16_e32 v40, v15, v40
	v_mul_f16_sdwa v15, v13, s15 dst_sel:DWORD dst_unused:UNUSED_PAD src0_sel:WORD_1 src1_sel:DWORD
	v_add_f16_e32 v34, v46, v34
	v_fma_f16 v46, v16, s11, v32
	v_fma_f16 v32, v14, s5, -v15
	v_add_f16_e32 v41, v32, v41
	v_mul_f16_e32 v32, 0x3bf1, v13
	v_fma_f16 v15, v14, s5, v15
	v_add_f16_e32 v43, v15, v43
	v_fma_f16 v15, v16, s5, -v32
	v_add_f16_sdwa v38, v9, v38 dst_sel:DWORD dst_unused:UNUSED_PAD src0_sel:WORD_1 src1_sel:DWORD
	v_add_f16_e32 v44, v15, v44
	v_pk_add_f16 v15, v22, v28 neg_lo:[0,1] neg_hi:[0,1]
	v_add_f16_e32 v38, v46, v38
	v_fma_f16 v46, v16, s5, v32
	v_pk_add_f16 v16, v28, v22
	v_mul_f16_sdwa v22, v15, s19 dst_sel:DWORD dst_unused:UNUSED_PAD src0_sel:WORD_1 src1_sel:DWORD
	v_fma_f16 v28, v16, s5, -v22
	v_fma_f16 v22, v16, s5, v22
	s_mov_b32 s17, 0x2fb7bbc4
	v_add_f16_e32 v22, v22, v24
	v_pk_mul_f16 v24, v16, s17
	s_mov_b32 s17, 0xb3a8bbf1
	v_pk_fma_f16 v32, v15, s17, v24 op_sel:[0,0,1] op_sel_hi:[1,1,0] neg_lo:[1,0,0] neg_hi:[1,0,0]
	v_pk_fma_f16 v24, v15, s17, v24 op_sel:[0,0,1] op_sel_hi:[1,1,0]
	v_add_f16_sdwa v42, v9, v42 dst_sel:DWORD dst_unused:UNUSED_PAD src0_sel:WORD_1 src1_sel:DWORD
	v_add_f16_e32 v17, v28, v17
	v_bfi_b32 v28, s4, v24, v32
	v_add_f16_e32 v42, v46, v42
	v_pk_add_f16 v25, v28, v25
	v_lshrrev_b32_e32 v28, 16, v16
	v_mul_f16_e32 v46, 0xb3a8, v15
	v_pk_add_f16 v31, v24, v31
	v_fma_f16 v24, v28, s16, -v46
	s_movk_i32 s17, 0x3b7b
	v_add_f16_e32 v45, v24, v45
	v_mul_f16_sdwa v24, v15, s17 dst_sel:DWORD dst_unused:UNUSED_PAD src0_sel:WORD_1 src1_sel:DWORD
	v_fma_f16 v47, v28, s16, v46
	v_fma_f16 v46, v16, s7, -v24
	v_add_f16_e32 v33, v46, v33
	v_mul_f16_e32 v46, 0x3b7b, v15
	v_fma_f16 v24, v16, s7, v24
	v_add_f16_e32 v35, v24, v35
	v_fma_f16 v24, v28, s7, -v46
	s_movk_i32 s17, 0x3770
	v_add_f16_e32 v36, v24, v36
	v_mul_f16_sdwa v24, v15, s17 dst_sel:DWORD dst_unused:UNUSED_PAD src0_sel:WORD_1 src1_sel:DWORD
	v_add_f16_e32 v30, v47, v30
	v_fma_f16 v47, v28, s7, v46
	v_fma_f16 v46, v16, s2, -v24
	v_add_f16_e32 v37, v46, v37
	v_mul_f16_e32 v46, 0x3770, v15
	v_fma_f16 v24, v16, s2, v24
	v_add_f16_e32 v39, v24, v39
	v_fma_f16 v24, v28, s2, -v46
	v_add_f16_e32 v40, v24, v40
	v_mul_f16_sdwa v24, v15, s18 dst_sel:DWORD dst_unused:UNUSED_PAD src0_sel:WORD_1 src1_sel:DWORD
	v_add_f16_e32 v34, v47, v34
	v_fma_f16 v47, v28, s2, v46
	v_fma_f16 v46, v16, s3, -v24
	v_add_f16_e32 v41, v46, v41
	v_mul_f16_e32 v46, 0xba95, v15
	v_fma_f16 v24, v16, s3, v24
	v_add_f16_e32 v43, v24, v43
	v_fma_f16 v24, v28, s3, -v46
	v_add_f16_e32 v38, v47, v38
	v_fma_f16 v47, v28, s3, v46
	v_add_f16_e32 v28, v24, v44
	v_pk_add_f16 v24, v27, v23
	v_pk_add_f16 v23, v23, v27 neg_lo:[0,1] neg_hi:[0,1]
	v_mul_f16_sdwa v27, v23, s6 dst_sel:DWORD dst_unused:UNUSED_PAD src0_sel:WORD_1 src1_sel:DWORD
	v_fma_f16 v44, v24, s7, -v27
	v_add_f16_e32 v44, v44, v17
	v_fma_f16 v17, v24, s7, v27
	s_mov_b32 s20, 0xb5acb9fd
	v_add_f16_e32 v46, v17, v22
	v_pk_mul_f16 v17, v24, s20
	s_mov_b32 s20, 0x394ebb7b
	v_add_f16_e32 v42, v47, v42
	v_pk_fma_f16 v47, v23, s20, v17 op_sel:[0,0,1] op_sel_hi:[1,1,0] neg_lo:[1,0,0] neg_hi:[1,0,0]
	v_pk_fma_f16 v17, v23, s20, v17 op_sel:[0,0,1] op_sel_hi:[1,1,0]
	v_bfi_b32 v22, s4, v17, v47
	v_pk_add_f16 v25, v22, v25
	v_lshrrev_b32_e32 v27, 16, v24
	v_mul_f16_e32 v22, 0x394e, v23
	v_fma_f16 v48, v27, s11, v22
	v_fma_f16 v22, v27, s11, -v22
	v_pk_add_f16 v17, v17, v31
	v_add_f16_e32 v31, v22, v45
	v_mul_f16_sdwa v22, v23, s17 dst_sel:DWORD dst_unused:UNUSED_PAD src0_sel:WORD_1 src1_sel:DWORD
	v_fma_f16 v45, v24, s2, -v22
	v_add_f16_e32 v33, v45, v33
	v_mul_f16_e32 v45, 0x3770, v23
	v_fma_f16 v22, v24, s2, v22
	v_add_f16_e32 v35, v22, v35
	v_fma_f16 v22, v27, s2, -v45
	v_add_f16_e32 v22, v22, v36
	v_mul_f16_sdwa v36, v23, s19 dst_sel:DWORD dst_unused:UNUSED_PAD src0_sel:WORD_1 src1_sel:DWORD
	v_add_f16_e32 v30, v48, v30
	v_fma_f16 v48, v27, s2, v45
	v_fma_f16 v45, v24, s5, -v36
	v_add_f16_e32 v37, v45, v37
	v_mul_f16_e32 v45, 0xbbf1, v23
	v_fma_f16 v36, v24, s5, v36
	v_add_f16_e32 v36, v36, v39
	v_fma_f16 v39, v27, s5, -v45
	s_movk_i32 s19, 0x33a8
	v_add_f16_e32 v39, v39, v40
	v_mul_f16_sdwa v40, v23, s19 dst_sel:DWORD dst_unused:UNUSED_PAD src0_sel:WORD_1 src1_sel:DWORD
	v_add_f16_e32 v34, v48, v34
	v_fma_f16 v48, v27, s5, v45
	v_fma_f16 v45, v24, s16, -v40
	v_add_f16_e32 v41, v45, v41
	v_mul_f16_e32 v45, 0x33a8, v23
	v_add_f16_e32 v38, v48, v38
	v_fma_f16 v48, v27, s16, v45
	v_fma_f16 v40, v24, s16, v40
	v_fma_f16 v27, v27, s16, -v45
	v_add_f16_e32 v40, v40, v43
	v_add_f16_e32 v43, v27, v28
	v_pk_add_f16 v27, v4, v7 neg_lo:[0,1] neg_hi:[0,1]
	v_pk_add_f16 v28, v7, v4
	v_mul_f16_sdwa v4, v27, s10 dst_sel:DWORD dst_unused:UNUSED_PAD src0_sel:WORD_1 src1_sel:DWORD
	v_fma_f16 v7, v28, s11, -v4
	s_mov_b32 s20, 0xb9fd2fb7
	v_add_f16_e32 v44, v7, v44
	v_pk_mul_f16 v7, v28, s20
	s_mov_b32 s20, 0x3bf1b94e
	v_fma_f16 v4, v28, s11, v4
	v_pk_fma_f16 v45, v27, s20, v7 op_sel:[0,0,1] op_sel_hi:[1,1,0] neg_lo:[1,0,0] neg_hi:[1,0,0]
	v_pk_fma_f16 v7, v27, s20, v7 op_sel:[0,0,1] op_sel_hi:[1,1,0]
	v_add_f16_e32 v4, v4, v46
	v_bfi_b32 v46, s4, v7, v45
	v_add_f16_e32 v42, v48, v42
	v_pk_add_f16 v46, v46, v25
	v_lshrrev_b32_e32 v48, 16, v28
	v_mul_f16_e32 v25, 0x3bf1, v27
	v_fma_f16 v49, v48, s5, v25
	v_fma_f16 v25, v48, s5, -v25
	v_add_f16_e32 v50, v25, v31
	v_mul_f16_sdwa v25, v27, s18 dst_sel:DWORD dst_unused:UNUSED_PAD src0_sel:WORD_1 src1_sel:DWORD
	v_add_f16_e32 v49, v49, v30
	v_fma_f16 v30, v28, s3, -v25
	v_add_f16_e32 v33, v30, v33
	v_mul_f16_e32 v30, 0xba95, v27
	v_fma_f16 v25, v28, s3, v25
	v_fma_f16 v31, v48, s3, v30
	v_add_f16_e32 v35, v25, v35
	v_fma_f16 v25, v48, s3, -v30
	v_mul_f16_sdwa v30, v27, s19 dst_sel:DWORD dst_unused:UNUSED_PAD src0_sel:WORD_1 src1_sel:DWORD
	v_add_f16_e32 v51, v31, v34
	v_fma_f16 v31, v28, s16, -v30
	v_add_f16_e32 v37, v31, v37
	v_mul_f16_e32 v31, 0x33a8, v27
	v_fma_f16 v30, v28, s16, v30
	v_add_f16_e32 v36, v30, v36
	v_fma_f16 v30, v48, s16, -v31
	v_add_f16_e32 v39, v30, v39
	v_mul_f16_sdwa v30, v27, s17 dst_sel:DWORD dst_unused:UNUSED_PAD src0_sel:WORD_1 src1_sel:DWORD
	v_fma_f16 v34, v48, s16, v31
	v_fma_f16 v31, v28, s2, -v30
	v_add_f16_e32 v41, v31, v41
	v_mul_f16_e32 v31, 0x3770, v27
	v_fma_f16 v30, v28, s2, v30
	v_add_f16_e32 v40, v30, v40
	v_fma_f16 v30, v48, s2, -v31
	v_add_f16_e32 v43, v30, v43
	v_pk_add_f16 v30, v6, v5
	v_pk_add_f16 v5, v5, v6 neg_lo:[0,1] neg_hi:[0,1]
	v_mul_f16_sdwa v6, v5, s14 dst_sel:DWORD dst_unused:UNUSED_PAD src0_sel:WORD_1 src1_sel:DWORD
	v_add_f16_e32 v38, v34, v38
	v_fma_f16 v34, v48, s2, v31
	v_fma_f16 v31, v30, s16, -v6
	v_fma_f16 v6, v30, s16, v6
	s_mov_b32 s18, 0xbbc43b15
	v_add_f16_sdwa v26, v9, v26 dst_sel:DWORD dst_unused:UNUSED_PAD src0_sel:WORD_1 src1_sel:DWORD
	v_add_f16_e32 v4, v6, v4
	v_pk_mul_f16 v6, v30, s18
	s_mov_b32 s18, 0x3770b3a8
	v_add_f16_e32 v26, v29, v26
	v_add_f16_e32 v42, v34, v42
	v_pk_fma_f16 v34, v5, s18, v6 op_sel:[0,0,1] op_sel_hi:[1,1,0] neg_lo:[1,0,0] neg_hi:[1,0,0]
	v_add_f16_e32 v26, v32, v26
	v_pk_fma_f16 v29, v5, s18, v6 op_sel:[0,0,1] op_sel_hi:[1,1,0]
	v_add_f16_e32 v26, v47, v26
	v_bfi_b32 v29, s4, v29, v34
	v_add_f16_e32 v26, v45, v26
	v_pk_add_f16 v45, v29, v46
	v_lshrrev_b32_e32 v46, 16, v30
	v_mul_f16_e32 v29, 0x3770, v5
	v_fma_f16 v32, v46, s2, v29
	v_mul_f16_sdwa v48, v5, s10 dst_sel:DWORD dst_unused:UNUSED_PAD src0_sel:WORD_1 src1_sel:DWORD
	v_add_f16_e32 v47, v32, v49
	v_fma_f16 v32, v30, s11, -v48
	v_add_f16_e32 v49, v32, v33
	v_mul_f16_e32 v32, 0xb9fd, v46
	v_fma_f16 v29, v46, s2, -v29
	v_fma_f16 v33, v5, s10, v32
	v_add_f16_e32 v44, v31, v44
	v_pk_mul_f16 v31, v5, s18
	v_add_f16_e32 v29, v29, v50
	v_add_f16_e32 v50, v33, v51
	v_fma_f16 v33, v30, s11, v48
	s_movk_i32 s18, 0x3a95
	v_add_f16_e32 v33, v33, v35
	v_mul_f16_sdwa v35, v5, s18 dst_sel:DWORD dst_unused:UNUSED_PAD src0_sel:WORD_1 src1_sel:DWORD
	v_fma_f16 v48, v30, s3, -v35
	v_add_f16_e32 v48, v48, v37
	v_mul_f16_e32 v37, 0x3a95, v5
	v_fma_f16 v35, v30, s3, v35
	v_fma_f16 v51, v46, s3, v37
	v_add_f16_e32 v35, v35, v36
	v_fma_f16 v36, v46, s3, -v37
	v_mul_f16_sdwa v37, v5, s6 dst_sel:DWORD dst_unused:UNUSED_PAD src0_sel:WORD_1 src1_sel:DWORD
	v_add_f16_e32 v51, v51, v38
	v_fma_f16 v38, v30, s7, -v37
	v_add_f16_e32 v36, v36, v39
	v_add_f16_e32 v39, v38, v41
	v_mul_f16_e32 v38, 0xbb7b, v5
	v_fma_f16 v41, v46, s7, v38
	v_add_f16_e32 v41, v41, v42
	v_pack_b32_f16 v39, v39, v41
	s_waitcnt lgkmcnt(0)
	; wave barrier
	ds_write2_b32 v8, v11, v39 offset1:5
	v_pk_mul_f16 v11, v12, s16 op_sel_hi:[1,0]
	v_pk_fma_f16 v12, v10, s14, v11 op_sel:[0,0,1] op_sel_hi:[1,0,0] neg_lo:[1,0,0] neg_hi:[1,0,0]
	v_pk_fma_f16 v10, v10, s14, v11 op_sel:[0,0,1] op_sel_hi:[1,0,0]
	v_pk_add_f16 v12, v9, v12 op_sel:[1,0] op_sel_hi:[0,1]
	v_pk_add_f16 v9, v9, v10 op_sel:[1,0] op_sel_hi:[0,1]
	v_pk_mul_f16 v10, v14, s2 op_sel_hi:[1,0]
	v_pk_fma_f16 v11, v13, s17, v10 op_sel:[0,0,1] op_sel_hi:[1,0,0] neg_lo:[1,0,0] neg_hi:[1,0,0]
	v_pk_fma_f16 v10, v13, s17, v10 op_sel:[0,0,1] op_sel_hi:[1,0,0]
	v_pk_add_f16 v9, v10, v9
	v_pk_mul_f16 v10, v16, s11 op_sel_hi:[1,0]
	v_pk_add_f16 v11, v11, v12
	v_pk_fma_f16 v12, v15, s10, v10 op_sel:[0,0,1] op_sel_hi:[1,0,0] neg_lo:[1,0,0] neg_hi:[1,0,0]
	v_pk_fma_f16 v10, v15, s10, v10 op_sel:[0,0,1] op_sel_hi:[1,0,0]
	v_pk_add_f16 v9, v10, v9
	v_pk_mul_f16 v10, v24, s3 op_sel_hi:[1,0]
	v_pk_add_f16 v11, v12, v11
	v_pk_fma_f16 v12, v23, s18, v10 op_sel:[0,0,1] op_sel_hi:[1,0,0] neg_lo:[1,0,0] neg_hi:[1,0,0]
	v_pk_fma_f16 v10, v23, s18, v10 op_sel:[0,0,1] op_sel_hi:[1,0,0]
	v_pk_add_f16 v9, v10, v9
	v_pk_mul_f16 v10, v28, s7 op_sel_hi:[1,0]
	v_pk_add_f16 v11, v12, v11
	v_pk_fma_f16 v12, v27, s6, v10 op_sel:[0,0,1] op_sel_hi:[1,0,0] neg_lo:[1,0,0] neg_hi:[1,0,0]
	v_pk_fma_f16 v10, v27, s6, v10 op_sel:[0,0,1] op_sel_hi:[1,0,0]
	v_pk_add_f16 v9, v10, v9
	v_pk_mul_f16 v10, v30, s5 op_sel_hi:[1,0]
	v_add_f16_e32 v26, v34, v26
	v_mul_f16_e32 v34, 0xb94e, v5
	v_pk_add_f16 v11, v12, v11
	v_pk_fma_f16 v12, v5, s15, v10 op_sel:[0,0,1] op_sel_hi:[1,0,0] neg_lo:[1,0,0] neg_hi:[1,0,0]
	v_pk_fma_f16 v5, v5, s15, v10 op_sel:[0,0,1] op_sel_hi:[1,0,0]
	v_fma_f16 v37, v30, s7, v37
	v_fma_f16 v38, v46, s7, -v38
	v_pk_add_f16 v11, v12, v11
	v_pk_add_f16 v5, v5, v9
	v_add_f16_e32 v37, v37, v40
	v_add_f16_e32 v38, v38, v43
	v_alignbit_b32 v9, v11, v5, 16
	v_alignbit_b32 v5, v5, v11, 16
	ds_write2_b32 v8, v5, v9 offset0:6 offset1:7
	v_pack_b32_f16 v5, v35, v36
	v_pack_b32_f16 v9, v37, v38
	ds_write2_b32 v8, v9, v5 offset0:8 offset1:9
	v_pack_b32_f16 v5, v25, v6
	v_bfi_b32 v6, s4, v22, v31
	v_pk_add_f16 v5, v5, v6
	v_bfi_b32 v6, s4, v34, v17
	v_pk_add_f16 v6, v32, v6 neg_lo:[0,1] neg_hi:[0,1]
	v_pk_add_f16 v7, v7, v17
	v_bfi_b32 v6, s4, v6, v7
	v_pk_add_f16 v5, v6, v5
	v_alignbit_b32 v40, v47, v45, 16
	v_pack_b32_f16 v42, v44, v45
	v_alignbit_b32 v6, v29, v5, 16
	v_pack_b32_f16 v5, v33, v5
	ds_write2_b32 v8, v42, v40 offset0:1 offset1:2
	v_pack_b32_f16 v40, v48, v51
	v_pack_b32_f16 v42, v49, v50
	ds_write2_b32 v8, v5, v6 offset0:10 offset1:11
	v_pack_b32_f16 v5, v4, v26
	ds_write2_b32 v8, v42, v40 offset0:3 offset1:4
	ds_write_b32 v8, v5 offset:48
	s_waitcnt lgkmcnt(0)
	; wave barrier
	s_waitcnt lgkmcnt(0)
	ds_read2_b32 v[12:13], v21 offset0:2 offset1:4
	ds_read2_b32 v[8:9], v21 offset0:6 offset1:8
	;; [unrolled: 1-line block ×5, first 2 shown]
	ds_read_b32 v20, v20
	ds_read_b32 v22, v21 offset:92
	v_mov_b32_e32 v6, 0
	v_mov_b32_e32 v7, 0
                                        ; implicit-def: $vgpr7
	s_and_saveexec_b64 s[2:3], s[0:1]
	s_cbranch_execz .LBB0_21
; %bb.20:
	ds_read2_b32 v[4:5], v18 offset0:12 offset1:25
	v_mov_b32_e32 v6, 12
	v_mov_b32_e32 v7, 0
	s_waitcnt lgkmcnt(0)
	v_lshrrev_b32_e32 v26, 16, v4
	v_lshrrev_b32_e32 v7, 16, v5
.LBB0_21:
	s_or_b64 exec, exec, s[2:3]
	global_load_dword v23, v19, s[8:9]
	global_load_dword v24, v1, s[8:9] offset:8
	global_load_dword v25, v1, s[8:9] offset:16
	global_load_dword v27, v1, s[8:9] offset:24
	global_load_dword v28, v1, s[8:9] offset:32
	global_load_dword v29, v1, s[8:9] offset:40
	s_waitcnt lgkmcnt(0)
	; wave barrier
	s_waitcnt vmcnt(5) lgkmcnt(0)
	v_pk_mul_f16 v1, v23, v11 op_sel:[0,1]
	s_waitcnt vmcnt(4)
	v_pk_mul_f16 v19, v24, v16 op_sel:[0,1]
	s_waitcnt vmcnt(3)
	;; [unrolled: 2-line block ×5, first 2 shown]
	v_pk_mul_f16 v33, v29, v22 op_sel:[0,1]
	v_pk_fma_f16 v34, v23, v11, v1 op_sel:[0,0,1] op_sel_hi:[1,1,0] neg_lo:[0,0,1] neg_hi:[0,0,1]
	v_pk_fma_f16 v1, v23, v11, v1 op_sel:[0,0,1] op_sel_hi:[1,0,0]
	v_pk_fma_f16 v11, v24, v16, v19 op_sel:[0,0,1] op_sel_hi:[1,1,0] neg_lo:[0,0,1] neg_hi:[0,0,1]
	v_pk_fma_f16 v16, v24, v16, v19 op_sel:[0,0,1] op_sel_hi:[1,0,0]
	;; [unrolled: 2-line block ×6, first 2 shown]
	v_bfi_b32 v1, s4, v34, v1
	v_bfi_b32 v11, s4, v11, v16
	;; [unrolled: 1-line block ×6, first 2 shown]
	v_pk_add_f16 v1, v20, v1 neg_lo:[0,1] neg_hi:[0,1]
	v_pk_add_f16 v11, v12, v11 neg_lo:[0,1] neg_hi:[0,1]
	;; [unrolled: 1-line block ×6, first 2 shown]
	v_pk_fma_f16 v19, v20, 2.0, v1 op_sel_hi:[1,0,1] neg_lo:[0,0,1] neg_hi:[0,0,1]
	v_pk_fma_f16 v12, v12, 2.0, v11 op_sel_hi:[1,0,1] neg_lo:[0,0,1] neg_hi:[0,0,1]
	;; [unrolled: 1-line block ×6, first 2 shown]
	ds_write_b32 v21, v1 offset:52
	ds_write2_b32 v21, v11, v16 offset0:15 offset1:17
	ds_write2_b32 v21, v14, v15 offset0:19 offset1:21
	ds_write2_b32 v21, v19, v12 offset1:2
	ds_write2_b32 v21, v13, v8 offset0:4 offset1:6
	ds_write2_b32 v21, v9, v10 offset0:8 offset1:10
	ds_write_b32 v21, v17 offset:92
	s_and_saveexec_b64 s[2:3], s[0:1]
	s_cbranch_execz .LBB0_23
; %bb.22:
	v_lshlrev_b32_e32 v1, 2, v6
	global_load_dword v1, v1, s[8:9]
	s_waitcnt vmcnt(0)
	v_mul_f16_sdwa v6, v7, v1 dst_sel:DWORD dst_unused:UNUSED_PAD src0_sel:DWORD src1_sel:WORD_1
	v_mul_f16_sdwa v8, v5, v1 dst_sel:DWORD dst_unused:UNUSED_PAD src0_sel:DWORD src1_sel:WORD_1
	v_fma_f16 v5, v5, v1, -v6
	v_fma_f16 v1, v7, v1, v8
	v_sub_f16_e32 v5, v4, v5
	v_sub_f16_e32 v1, v26, v1
	v_fma_f16 v4, v4, 2.0, -v5
	v_fma_f16 v6, v26, 2.0, -v1
	v_pack_b32_f16 v4, v4, v6
	v_pack_b32_f16 v1, v5, v1
	ds_write2_b32 v18, v4, v1 offset0:12 offset1:25
.LBB0_23:
	s_or_b64 exec, exec, s[2:3]
	s_waitcnt lgkmcnt(0)
	; wave barrier
	s_waitcnt lgkmcnt(0)
	s_and_saveexec_b64 s[0:1], vcc
	s_cbranch_execz .LBB0_25
; %bb.24:
	v_lshl_add_u32 v12, v0, 2, v18
	v_mov_b32_e32 v4, s13
	v_add_co_u32_e32 v13, vcc, s12, v2
	v_mov_b32_e32 v1, 0
	v_addc_co_u32_e32 v14, vcc, v4, v3, vcc
	ds_read2_b32 v[4:5], v12 offset1:2
	v_lshlrev_b64 v[2:3], 2, v[0:1]
	ds_read2_b32 v[6:7], v12 offset0:4 offset1:6
	ds_read2_b32 v[8:9], v12 offset0:8 offset1:10
	;; [unrolled: 1-line block ×3, first 2 shown]
	v_add_co_u32_e32 v2, vcc, v13, v2
	v_addc_co_u32_e32 v3, vcc, v14, v3, vcc
	s_waitcnt lgkmcnt(3)
	global_store_dword v[2:3], v4, off
	v_add_u32_e32 v2, 2, v0
	v_mov_b32_e32 v3, v1
	v_lshlrev_b64 v[2:3], 2, v[2:3]
	v_add_co_u32_e32 v2, vcc, v13, v2
	v_addc_co_u32_e32 v3, vcc, v14, v3, vcc
	global_store_dword v[2:3], v5, off
	v_add_u32_e32 v2, 4, v0
	v_mov_b32_e32 v3, v1
	v_lshlrev_b64 v[2:3], 2, v[2:3]
	ds_read2_b32 v[4:5], v12 offset0:16 offset1:18
	v_add_co_u32_e32 v2, vcc, v13, v2
	v_addc_co_u32_e32 v3, vcc, v14, v3, vcc
	s_waitcnt lgkmcnt(3)
	global_store_dword v[2:3], v6, off
	v_add_u32_e32 v2, 6, v0
	v_mov_b32_e32 v3, v1
	v_lshlrev_b64 v[2:3], 2, v[2:3]
	v_add_co_u32_e32 v2, vcc, v13, v2
	v_addc_co_u32_e32 v3, vcc, v14, v3, vcc
	global_store_dword v[2:3], v7, off
	v_add_u32_e32 v2, 8, v0
	v_mov_b32_e32 v3, v1
	v_lshlrev_b64 v[2:3], 2, v[2:3]
	v_add_co_u32_e32 v2, vcc, v13, v2
	v_addc_co_u32_e32 v3, vcc, v14, v3, vcc
	s_waitcnt lgkmcnt(2)
	global_store_dword v[2:3], v8, off
	v_add_u32_e32 v2, 10, v0
	v_mov_b32_e32 v3, v1
	v_lshlrev_b64 v[2:3], 2, v[2:3]
	v_add_co_u32_e32 v2, vcc, v13, v2
	v_addc_co_u32_e32 v3, vcc, v14, v3, vcc
	global_store_dword v[2:3], v9, off
	v_add_u32_e32 v2, 12, v0
	v_mov_b32_e32 v3, v1
	v_lshlrev_b64 v[2:3], 2, v[2:3]
	;; [unrolled: 13-line block ×3, first 2 shown]
	v_add_co_u32_e32 v2, vcc, v13, v2
	v_addc_co_u32_e32 v3, vcc, v14, v3, vcc
	s_waitcnt lgkmcnt(0)
	global_store_dword v[2:3], v4, off
	v_add_u32_e32 v2, 18, v0
	v_mov_b32_e32 v3, v1
	v_lshlrev_b64 v[2:3], 2, v[2:3]
	ds_read2_b32 v[6:7], v12 offset0:20 offset1:22
	ds_read_b32 v4, v12 offset:96
	v_add_co_u32_e32 v2, vcc, v13, v2
	v_addc_co_u32_e32 v3, vcc, v14, v3, vcc
	global_store_dword v[2:3], v5, off
	v_add_u32_e32 v2, 20, v0
	v_mov_b32_e32 v3, v1
	v_lshlrev_b64 v[2:3], 2, v[2:3]
	v_add_co_u32_e32 v2, vcc, v13, v2
	v_addc_co_u32_e32 v3, vcc, v14, v3, vcc
	s_waitcnt lgkmcnt(1)
	global_store_dword v[2:3], v6, off
	v_add_u32_e32 v2, 22, v0
	v_mov_b32_e32 v3, v1
	v_lshlrev_b64 v[2:3], 2, v[2:3]
	v_add_u32_e32 v0, 24, v0
	v_add_co_u32_e32 v2, vcc, v13, v2
	v_lshlrev_b64 v[0:1], 2, v[0:1]
	v_addc_co_u32_e32 v3, vcc, v14, v3, vcc
	v_add_co_u32_e32 v0, vcc, v13, v0
	v_addc_co_u32_e32 v1, vcc, v14, v1, vcc
	global_store_dword v[2:3], v7, off
	s_waitcnt lgkmcnt(0)
	global_store_dword v[0:1], v4, off
.LBB0_25:
	s_endpgm
	.section	.rodata,"a",@progbits
	.p2align	6, 0x0
	.amdhsa_kernel fft_rtc_fwd_len26_factors_13_2_wgs_64_tpt_2_halfLds_half_ip_CI_unitstride_sbrr_C2R_dirReg
		.amdhsa_group_segment_fixed_size 0
		.amdhsa_private_segment_fixed_size 0
		.amdhsa_kernarg_size 88
		.amdhsa_user_sgpr_count 6
		.amdhsa_user_sgpr_private_segment_buffer 1
		.amdhsa_user_sgpr_dispatch_ptr 0
		.amdhsa_user_sgpr_queue_ptr 0
		.amdhsa_user_sgpr_kernarg_segment_ptr 1
		.amdhsa_user_sgpr_dispatch_id 0
		.amdhsa_user_sgpr_flat_scratch_init 0
		.amdhsa_user_sgpr_private_segment_size 0
		.amdhsa_uses_dynamic_stack 0
		.amdhsa_system_sgpr_private_segment_wavefront_offset 0
		.amdhsa_system_sgpr_workgroup_id_x 1
		.amdhsa_system_sgpr_workgroup_id_y 0
		.amdhsa_system_sgpr_workgroup_id_z 0
		.amdhsa_system_sgpr_workgroup_info 0
		.amdhsa_system_vgpr_workitem_id 0
		.amdhsa_next_free_vgpr 52
		.amdhsa_next_free_sgpr 22
		.amdhsa_reserve_vcc 1
		.amdhsa_reserve_flat_scratch 0
		.amdhsa_float_round_mode_32 0
		.amdhsa_float_round_mode_16_64 0
		.amdhsa_float_denorm_mode_32 3
		.amdhsa_float_denorm_mode_16_64 3
		.amdhsa_dx10_clamp 1
		.amdhsa_ieee_mode 1
		.amdhsa_fp16_overflow 0
		.amdhsa_exception_fp_ieee_invalid_op 0
		.amdhsa_exception_fp_denorm_src 0
		.amdhsa_exception_fp_ieee_div_zero 0
		.amdhsa_exception_fp_ieee_overflow 0
		.amdhsa_exception_fp_ieee_underflow 0
		.amdhsa_exception_fp_ieee_inexact 0
		.amdhsa_exception_int_div_zero 0
	.end_amdhsa_kernel
	.text
.Lfunc_end0:
	.size	fft_rtc_fwd_len26_factors_13_2_wgs_64_tpt_2_halfLds_half_ip_CI_unitstride_sbrr_C2R_dirReg, .Lfunc_end0-fft_rtc_fwd_len26_factors_13_2_wgs_64_tpt_2_halfLds_half_ip_CI_unitstride_sbrr_C2R_dirReg
                                        ; -- End function
	.section	.AMDGPU.csdata,"",@progbits
; Kernel info:
; codeLenInByte = 6704
; NumSgprs: 26
; NumVgprs: 52
; ScratchSize: 0
; MemoryBound: 0
; FloatMode: 240
; IeeeMode: 1
; LDSByteSize: 0 bytes/workgroup (compile time only)
; SGPRBlocks: 3
; VGPRBlocks: 12
; NumSGPRsForWavesPerEU: 26
; NumVGPRsForWavesPerEU: 52
; Occupancy: 4
; WaveLimiterHint : 1
; COMPUTE_PGM_RSRC2:SCRATCH_EN: 0
; COMPUTE_PGM_RSRC2:USER_SGPR: 6
; COMPUTE_PGM_RSRC2:TRAP_HANDLER: 0
; COMPUTE_PGM_RSRC2:TGID_X_EN: 1
; COMPUTE_PGM_RSRC2:TGID_Y_EN: 0
; COMPUTE_PGM_RSRC2:TGID_Z_EN: 0
; COMPUTE_PGM_RSRC2:TIDIG_COMP_CNT: 0
	.type	__hip_cuid_cc42485719f83e94,@object ; @__hip_cuid_cc42485719f83e94
	.section	.bss,"aw",@nobits
	.globl	__hip_cuid_cc42485719f83e94
__hip_cuid_cc42485719f83e94:
	.byte	0                               ; 0x0
	.size	__hip_cuid_cc42485719f83e94, 1

	.ident	"AMD clang version 19.0.0git (https://github.com/RadeonOpenCompute/llvm-project roc-6.4.0 25133 c7fe45cf4b819c5991fe208aaa96edf142730f1d)"
	.section	".note.GNU-stack","",@progbits
	.addrsig
	.addrsig_sym __hip_cuid_cc42485719f83e94
	.amdgpu_metadata
---
amdhsa.kernels:
  - .args:
      - .actual_access:  read_only
        .address_space:  global
        .offset:         0
        .size:           8
        .value_kind:     global_buffer
      - .offset:         8
        .size:           8
        .value_kind:     by_value
      - .actual_access:  read_only
        .address_space:  global
        .offset:         16
        .size:           8
        .value_kind:     global_buffer
      - .actual_access:  read_only
        .address_space:  global
        .offset:         24
        .size:           8
        .value_kind:     global_buffer
      - .offset:         32
        .size:           8
        .value_kind:     by_value
      - .actual_access:  read_only
        .address_space:  global
        .offset:         40
        .size:           8
        .value_kind:     global_buffer
      - .actual_access:  read_only
        .address_space:  global
        .offset:         48
        .size:           8
        .value_kind:     global_buffer
      - .offset:         56
        .size:           4
        .value_kind:     by_value
      - .actual_access:  read_only
        .address_space:  global
        .offset:         64
        .size:           8
        .value_kind:     global_buffer
      - .actual_access:  read_only
        .address_space:  global
        .offset:         72
        .size:           8
        .value_kind:     global_buffer
      - .address_space:  global
        .offset:         80
        .size:           8
        .value_kind:     global_buffer
    .group_segment_fixed_size: 0
    .kernarg_segment_align: 8
    .kernarg_segment_size: 88
    .language:       OpenCL C
    .language_version:
      - 2
      - 0
    .max_flat_workgroup_size: 64
    .name:           fft_rtc_fwd_len26_factors_13_2_wgs_64_tpt_2_halfLds_half_ip_CI_unitstride_sbrr_C2R_dirReg
    .private_segment_fixed_size: 0
    .sgpr_count:     26
    .sgpr_spill_count: 0
    .symbol:         fft_rtc_fwd_len26_factors_13_2_wgs_64_tpt_2_halfLds_half_ip_CI_unitstride_sbrr_C2R_dirReg.kd
    .uniform_work_group_size: 1
    .uses_dynamic_stack: false
    .vgpr_count:     52
    .vgpr_spill_count: 0
    .wavefront_size: 64
amdhsa.target:   amdgcn-amd-amdhsa--gfx906
amdhsa.version:
  - 1
  - 2
...

	.end_amdgpu_metadata
